;; amdgpu-corpus repo=ROCm/rocFFT kind=compiled arch=gfx950 opt=O3
	.text
	.amdgcn_target "amdgcn-amd-amdhsa--gfx950"
	.amdhsa_code_object_version 6
	.protected	fft_rtc_fwd_len594_factors_11_3_6_3_wgs_99_tpt_99_sp_ip_CI_unitstride_sbrr_C2R_dirReg ; -- Begin function fft_rtc_fwd_len594_factors_11_3_6_3_wgs_99_tpt_99_sp_ip_CI_unitstride_sbrr_C2R_dirReg
	.globl	fft_rtc_fwd_len594_factors_11_3_6_3_wgs_99_tpt_99_sp_ip_CI_unitstride_sbrr_C2R_dirReg
	.p2align	8
	.type	fft_rtc_fwd_len594_factors_11_3_6_3_wgs_99_tpt_99_sp_ip_CI_unitstride_sbrr_C2R_dirReg,@function
fft_rtc_fwd_len594_factors_11_3_6_3_wgs_99_tpt_99_sp_ip_CI_unitstride_sbrr_C2R_dirReg: ; @fft_rtc_fwd_len594_factors_11_3_6_3_wgs_99_tpt_99_sp_ip_CI_unitstride_sbrr_C2R_dirReg
; %bb.0:
	s_load_dwordx2 s[8:9], s[0:1], 0x50
	s_load_dwordx4 s[4:7], s[0:1], 0x0
	s_load_dwordx2 s[10:11], s[0:1], 0x18
	v_mul_u32_u24_e32 v1, 0x296, v0
	v_add_u32_sdwa v6, s2, v1 dst_sel:DWORD dst_unused:UNUSED_PAD src0_sel:DWORD src1_sel:WORD_1
	v_mov_b32_e32 v4, 0
	s_waitcnt lgkmcnt(0)
	v_cmp_lt_u64_e64 s[2:3], s[6:7], 2
	v_mov_b32_e32 v7, v4
	s_and_b64 vcc, exec, s[2:3]
	v_mov_b64_e32 v[2:3], 0
	s_cbranch_vccnz .LBB0_8
; %bb.1:
	s_load_dwordx2 s[2:3], s[0:1], 0x10
	s_add_u32 s12, s10, 8
	s_addc_u32 s13, s11, 0
	s_mov_b64 s[14:15], 1
	v_mov_b64_e32 v[2:3], 0
	s_waitcnt lgkmcnt(0)
	s_add_u32 s16, s2, 8
	s_addc_u32 s17, s3, 0
.LBB0_2:                                ; =>This Inner Loop Header: Depth=1
	s_load_dwordx2 s[18:19], s[16:17], 0x0
                                        ; implicit-def: $vgpr8_vgpr9
	s_waitcnt lgkmcnt(0)
	v_or_b32_e32 v5, s19, v7
	v_cmp_ne_u64_e32 vcc, 0, v[4:5]
	s_and_saveexec_b64 s[2:3], vcc
	s_xor_b64 s[20:21], exec, s[2:3]
	s_cbranch_execz .LBB0_4
; %bb.3:                                ;   in Loop: Header=BB0_2 Depth=1
	v_cvt_f32_u32_e32 v1, s18
	v_cvt_f32_u32_e32 v5, s19
	s_sub_u32 s2, 0, s18
	s_subb_u32 s3, 0, s19
	v_fmac_f32_e32 v1, 0x4f800000, v5
	v_rcp_f32_e32 v1, v1
	s_nop 0
	v_mul_f32_e32 v1, 0x5f7ffffc, v1
	v_mul_f32_e32 v5, 0x2f800000, v1
	v_trunc_f32_e32 v5, v5
	v_fmac_f32_e32 v1, 0xcf800000, v5
	v_cvt_u32_f32_e32 v5, v5
	v_cvt_u32_f32_e32 v1, v1
	v_mul_lo_u32 v8, s2, v5
	v_mul_hi_u32 v10, s2, v1
	v_mul_lo_u32 v9, s3, v1
	v_add_u32_e32 v10, v10, v8
	v_mul_lo_u32 v12, s2, v1
	v_add_u32_e32 v13, v10, v9
	v_mul_hi_u32 v8, v1, v12
	v_mul_hi_u32 v11, v1, v13
	v_mul_lo_u32 v10, v1, v13
	v_mov_b32_e32 v9, v4
	v_lshl_add_u64 v[8:9], v[8:9], 0, v[10:11]
	v_mul_hi_u32 v11, v5, v12
	v_mul_lo_u32 v12, v5, v12
	v_add_co_u32_e32 v8, vcc, v8, v12
	v_mul_hi_u32 v10, v5, v13
	s_nop 0
	v_addc_co_u32_e32 v8, vcc, v9, v11, vcc
	v_mov_b32_e32 v9, v4
	s_nop 0
	v_addc_co_u32_e32 v11, vcc, 0, v10, vcc
	v_mul_lo_u32 v10, v5, v13
	v_lshl_add_u64 v[8:9], v[8:9], 0, v[10:11]
	v_add_co_u32_e32 v1, vcc, v1, v8
	v_mul_lo_u32 v10, s2, v1
	s_nop 0
	v_addc_co_u32_e32 v5, vcc, v5, v9, vcc
	v_mul_lo_u32 v8, s2, v5
	v_mul_hi_u32 v9, s2, v1
	v_add_u32_e32 v8, v9, v8
	v_mul_lo_u32 v9, s3, v1
	v_add_u32_e32 v12, v8, v9
	v_mul_hi_u32 v14, v5, v10
	v_mul_lo_u32 v15, v5, v10
	v_mul_hi_u32 v9, v1, v12
	v_mul_lo_u32 v8, v1, v12
	v_mul_hi_u32 v10, v1, v10
	v_mov_b32_e32 v11, v4
	v_lshl_add_u64 v[8:9], v[10:11], 0, v[8:9]
	v_add_co_u32_e32 v8, vcc, v8, v15
	v_mul_hi_u32 v13, v5, v12
	s_nop 0
	v_addc_co_u32_e32 v8, vcc, v9, v14, vcc
	v_mul_lo_u32 v10, v5, v12
	s_nop 0
	v_addc_co_u32_e32 v11, vcc, 0, v13, vcc
	v_mov_b32_e32 v9, v4
	v_lshl_add_u64 v[8:9], v[8:9], 0, v[10:11]
	v_add_co_u32_e32 v1, vcc, v1, v8
	v_mul_hi_u32 v10, v6, v1
	s_nop 0
	v_addc_co_u32_e32 v5, vcc, v5, v9, vcc
	v_mad_u64_u32 v[8:9], s[2:3], v6, v5, 0
	v_mov_b32_e32 v11, v4
	v_lshl_add_u64 v[8:9], v[10:11], 0, v[8:9]
	v_mad_u64_u32 v[12:13], s[2:3], v7, v1, 0
	v_add_co_u32_e32 v1, vcc, v8, v12
	v_mad_u64_u32 v[10:11], s[2:3], v7, v5, 0
	s_nop 0
	v_addc_co_u32_e32 v8, vcc, v9, v13, vcc
	v_mov_b32_e32 v9, v4
	s_nop 0
	v_addc_co_u32_e32 v11, vcc, 0, v11, vcc
	v_lshl_add_u64 v[8:9], v[8:9], 0, v[10:11]
	v_mul_lo_u32 v1, s19, v8
	v_mul_lo_u32 v5, s18, v9
	v_mad_u64_u32 v[10:11], s[2:3], s18, v8, 0
	v_add3_u32 v1, v11, v5, v1
	v_sub_u32_e32 v5, v7, v1
	v_mov_b32_e32 v11, s19
	v_sub_co_u32_e32 v14, vcc, v6, v10
	v_lshl_add_u64 v[12:13], v[8:9], 0, 1
	s_nop 0
	v_subb_co_u32_e64 v5, s[2:3], v5, v11, vcc
	v_subrev_co_u32_e64 v10, s[2:3], s18, v14
	v_subb_co_u32_e32 v1, vcc, v7, v1, vcc
	s_nop 0
	v_subbrev_co_u32_e64 v5, s[2:3], 0, v5, s[2:3]
	v_cmp_le_u32_e64 s[2:3], s19, v5
	v_cmp_le_u32_e32 vcc, s19, v1
	s_nop 0
	v_cndmask_b32_e64 v11, 0, -1, s[2:3]
	v_cmp_le_u32_e64 s[2:3], s18, v10
	s_nop 1
	v_cndmask_b32_e64 v10, 0, -1, s[2:3]
	v_cmp_eq_u32_e64 s[2:3], s19, v5
	s_nop 1
	v_cndmask_b32_e64 v5, v11, v10, s[2:3]
	v_lshl_add_u64 v[10:11], v[8:9], 0, 2
	v_cmp_ne_u32_e64 s[2:3], 0, v5
	s_nop 1
	v_cndmask_b32_e64 v5, v13, v11, s[2:3]
	v_cndmask_b32_e64 v11, 0, -1, vcc
	v_cmp_le_u32_e32 vcc, s18, v14
	s_nop 1
	v_cndmask_b32_e64 v13, 0, -1, vcc
	v_cmp_eq_u32_e32 vcc, s19, v1
	s_nop 1
	v_cndmask_b32_e32 v1, v11, v13, vcc
	v_cmp_ne_u32_e32 vcc, 0, v1
	v_cndmask_b32_e64 v1, v12, v10, s[2:3]
	s_nop 0
	v_cndmask_b32_e32 v9, v9, v5, vcc
	v_cndmask_b32_e32 v8, v8, v1, vcc
.LBB0_4:                                ;   in Loop: Header=BB0_2 Depth=1
	s_andn2_saveexec_b64 s[2:3], s[20:21]
	s_cbranch_execz .LBB0_6
; %bb.5:                                ;   in Loop: Header=BB0_2 Depth=1
	v_cvt_f32_u32_e32 v1, s18
	s_sub_i32 s20, 0, s18
	v_rcp_iflag_f32_e32 v1, v1
	s_nop 0
	v_mul_f32_e32 v1, 0x4f7ffffe, v1
	v_cvt_u32_f32_e32 v1, v1
	v_mul_lo_u32 v5, s20, v1
	v_mul_hi_u32 v5, v1, v5
	v_add_u32_e32 v1, v1, v5
	v_mul_hi_u32 v1, v6, v1
	v_mul_lo_u32 v5, v1, s18
	v_sub_u32_e32 v5, v6, v5
	v_add_u32_e32 v8, 1, v1
	v_subrev_u32_e32 v9, s18, v5
	v_cmp_le_u32_e32 vcc, s18, v5
	s_nop 1
	v_cndmask_b32_e32 v5, v5, v9, vcc
	v_cndmask_b32_e32 v1, v1, v8, vcc
	v_add_u32_e32 v8, 1, v1
	v_cmp_le_u32_e32 vcc, s18, v5
	v_mov_b32_e32 v9, v4
	s_nop 0
	v_cndmask_b32_e32 v8, v1, v8, vcc
.LBB0_6:                                ;   in Loop: Header=BB0_2 Depth=1
	s_or_b64 exec, exec, s[2:3]
	v_mad_u64_u32 v[10:11], s[2:3], v8, s18, 0
	s_load_dwordx2 s[2:3], s[12:13], 0x0
	v_mul_lo_u32 v1, v9, s18
	v_mul_lo_u32 v5, v8, s19
	v_add3_u32 v1, v11, v5, v1
	v_sub_co_u32_e32 v5, vcc, v6, v10
	s_add_u32 s14, s14, 1
	s_nop 0
	v_subb_co_u32_e32 v1, vcc, v7, v1, vcc
	s_addc_u32 s15, s15, 0
	s_waitcnt lgkmcnt(0)
	v_mul_lo_u32 v1, s2, v1
	v_mul_lo_u32 v6, s3, v5
	v_mad_u64_u32 v[2:3], s[2:3], s2, v5, v[2:3]
	s_add_u32 s12, s12, 8
	v_add3_u32 v3, v6, v3, v1
	s_addc_u32 s13, s13, 0
	v_mov_b64_e32 v[6:7], s[6:7]
	s_add_u32 s16, s16, 8
	v_cmp_ge_u64_e32 vcc, s[14:15], v[6:7]
	s_addc_u32 s17, s17, 0
	s_cbranch_vccnz .LBB0_9
; %bb.7:                                ;   in Loop: Header=BB0_2 Depth=1
	v_mov_b64_e32 v[6:7], v[8:9]
	s_branch .LBB0_2
.LBB0_8:
	v_mov_b64_e32 v[8:9], v[6:7]
.LBB0_9:
	s_lshl_b64 s[2:3], s[6:7], 3
	s_add_u32 s2, s10, s2
	s_addc_u32 s3, s11, s3
	s_load_dwordx2 s[6:7], s[2:3], 0x0
	s_load_dwordx2 s[10:11], s[0:1], 0x20
	s_mov_b32 s2, 0x295fad5
	s_waitcnt lgkmcnt(0)
	v_mul_lo_u32 v1, s6, v9
	v_mul_lo_u32 v4, s7, v8
	v_mad_u64_u32 v[2:3], s[0:1], s6, v8, v[2:3]
	v_add3_u32 v3, v4, v3, v1
	v_mul_hi_u32 v1, v0, s2
	v_mul_u32_u24_e32 v1, 0x63, v1
	v_cmp_gt_u64_e64 s[0:1], s[10:11], v[8:9]
	v_sub_u32_e32 v22, v0, v1
	v_lshl_add_u64 v[20:21], v[2:3], 3, s[8:9]
	s_and_saveexec_b64 s[2:3], s[0:1]
	s_cbranch_execz .LBB0_13
; %bb.10:
	v_mov_b32_e32 v23, 0
	v_lshl_add_u64 v[0:1], v[22:23], 3, v[20:21]
	global_load_dwordx2 v[2:3], v[0:1], off
	global_load_dwordx2 v[4:5], v[0:1], off offset:792
	global_load_dwordx2 v[6:7], v[0:1], off offset:1584
	;; [unrolled: 1-line block ×5, first 2 shown]
	s_movk_i32 s6, 0x62
	v_lshl_add_u32 v0, v22, 3, 0
	v_cmp_eq_u32_e32 vcc, s6, v22
	v_add_u32_e32 v1, 0x400, v0
	v_add_u32_e32 v14, 0x800, v0
	s_waitcnt vmcnt(4)
	ds_write2_b64 v0, v[2:3], v[4:5] offset1:99
	s_waitcnt vmcnt(2)
	ds_write2_b64 v1, v[6:7], v[8:9] offset0:70 offset1:169
	s_waitcnt vmcnt(0)
	ds_write2_b64 v14, v[10:11], v[12:13] offset0:140 offset1:239
	s_and_saveexec_b64 s[6:7], vcc
	s_cbranch_execz .LBB0_12
; %bb.11:
	v_add_co_u32_e32 v0, vcc, 0x1000, v20
	v_mov_b32_e32 v22, 0x62
	s_nop 0
	v_addc_co_u32_e32 v1, vcc, 0, v21, vcc
	global_load_dwordx2 v[0:1], v[0:1], off offset:656
	s_waitcnt vmcnt(0)
	ds_write_b64 v23, v[0:1] offset:4752
.LBB0_12:
	s_or_b64 exec, exec, s[6:7]
.LBB0_13:
	s_or_b64 exec, exec, s[2:3]
	v_lshlrev_b32_e32 v0, 3, v22
	v_add_u32_e32 v36, 0, v0
	s_waitcnt lgkmcnt(0)
	s_barrier
	v_sub_u32_e32 v4, 0, v0
	ds_read_b32 v1, v36
	ds_read_b32 v2, v4 offset:4752
	s_add_u32 s2, s4, 0x1238
	s_addc_u32 s3, s5, 0
	v_cmp_ne_u32_e32 vcc, 0, v22
	s_waitcnt lgkmcnt(0)
	v_add_f32_e32 v0, v2, v1
	v_sub_f32_e32 v1, v1, v2
                                        ; implicit-def: $vgpr2_vgpr3
	s_and_saveexec_b64 s[6:7], vcc
	s_xor_b64 s[6:7], exec, s[6:7]
	s_cbranch_execz .LBB0_15
; %bb.14:
	v_mov_b32_e32 v23, 0
	v_lshl_add_u64 v[2:3], v[22:23], 3, s[2:3]
	global_load_dwordx2 v[2:3], v[2:3], off
	ds_read_b32 v5, v4 offset:4756
	ds_read_b32 v9, v36 offset:4
	v_mov_b32_e32 v8, v1
	v_mov_b32_e32 v7, v1
	s_waitcnt lgkmcnt(0)
	v_add_f32_e32 v6, v5, v9
	v_sub_f32_e32 v5, v9, v5
	v_mov_b32_e32 v9, v6
	v_mov_b32_e32 v1, v5
	s_waitcnt vmcnt(0)
	v_pk_mul_f32 v[10:11], v[8:9], v[2:3] op_sel:[0,1]
	v_pk_fma_f32 v[8:9], v[8:9], v[2:3], v[0:1] op_sel:[0,1,0]
	v_mov_b32_e32 v1, v11
	v_mov_b32_e32 v11, v5
	v_pk_fma_f32 v[12:13], v[2:3], v[6:7], v[8:9] neg_lo:[1,0,0] neg_hi:[1,0,0]
	v_pk_fma_f32 v[8:9], v[2:3], v[6:7], v[8:9] op_sel_hi:[0,1,1]
	v_pk_add_f32 v[0:1], v[0:1], v[10:11] neg_lo:[0,1] neg_hi:[0,1]
	v_mov_b32_e32 v13, v9
	v_pk_fma_f32 v[0:1], v[2:3], v[6:7], v[0:1] op_sel_hi:[0,1,1]
	ds_write_b64 v36, v[12:13]
	ds_write_b64 v4, v[0:1] offset:4752
	v_mov_b64_e32 v[2:3], v[22:23]
                                        ; implicit-def: $vgpr0
.LBB0_15:
	s_andn2_saveexec_b64 s[6:7], s[6:7]
	s_cbranch_execz .LBB0_17
; %bb.16:
	ds_write_b64 v36, v[0:1]
	v_mov_b32_e32 v2, 0
	ds_read_b64 v[0:1], v2 offset:2376
	s_mov_b32 s8, 2.0
	s_mov_b32 s9, -2.0
	s_waitcnt lgkmcnt(0)
	v_pk_mul_f32 v[0:1], v[0:1], s[8:9]
	ds_write_b64 v2, v[0:1] offset:2376
	v_mov_b64_e32 v[2:3], 0
.LBB0_17:
	s_or_b64 exec, exec, s[6:7]
	v_lshl_add_u64 v[0:1], v[2:3], 3, s[2:3]
	global_load_dwordx2 v[2:3], v[0:1], off offset:792
	global_load_dwordx2 v[6:7], v[0:1], off offset:1584
	ds_read_b64 v[0:1], v4 offset:3960
	ds_read_b64 v[8:9], v36 offset:792
	v_add_u32_e32 v23, 0x400, v36
	v_add_u32_e32 v37, 0x800, v36
	v_cmp_gt_u32_e32 vcc, 54, v22
	s_waitcnt lgkmcnt(0)
	v_pk_add_f32 v[10:11], v[8:9], v[0:1]
	v_pk_add_f32 v[0:1], v[8:9], v[0:1] neg_lo:[0,1] neg_hi:[0,1]
	v_mov_b32_e32 v8, v11
	v_mov_b32_e32 v9, v0
	;; [unrolled: 1-line block ×3, first 2 shown]
	s_waitcnt vmcnt(1)
	v_pk_mul_f32 v[12:13], v[8:9], v[2:3] op_sel:[0,1]
	s_nop 0
	v_pk_add_f32 v[14:15], v[10:11], v[12:13] op_sel:[0,1] op_sel_hi:[1,0]
	v_mov_b32_e32 v11, v12
	v_mov_b32_e32 v0, v13
	v_pk_fma_f32 v[12:13], v[2:3], v[8:9], v[14:15] neg_lo:[1,0,0] neg_hi:[1,0,0]
	v_pk_fma_f32 v[14:15], v[2:3], v[8:9], v[14:15] op_sel_hi:[0,1,1]
	v_pk_add_f32 v[0:1], v[10:11], v[0:1] neg_lo:[0,1] neg_hi:[0,1]
	v_mov_b32_e32 v13, v15
	v_pk_fma_f32 v[0:1], v[2:3], v[8:9], v[0:1] op_sel_hi:[0,1,1]
	ds_write_b64 v36, v[12:13] offset:792
	ds_write_b64 v4, v[0:1] offset:3960
	ds_read_b64 v[0:1], v4 offset:3168
	ds_read_b64 v[2:3], v36 offset:1584
	s_waitcnt lgkmcnt(0)
	v_pk_add_f32 v[8:9], v[2:3], v[0:1]
	v_pk_add_f32 v[0:1], v[2:3], v[0:1] neg_lo:[0,1] neg_hi:[0,1]
	v_mov_b32_e32 v2, v9
	v_mov_b32_e32 v3, v0
	;; [unrolled: 1-line block ×3, first 2 shown]
	s_waitcnt vmcnt(0)
	v_pk_mul_f32 v[10:11], v[2:3], v[6:7] op_sel:[0,1]
	s_nop 0
	v_pk_add_f32 v[12:13], v[8:9], v[10:11] op_sel:[0,1] op_sel_hi:[1,0]
	v_mov_b32_e32 v9, v10
	v_mov_b32_e32 v0, v11
	v_pk_fma_f32 v[10:11], v[6:7], v[2:3], v[12:13] neg_lo:[1,0,0] neg_hi:[1,0,0]
	v_pk_fma_f32 v[12:13], v[6:7], v[2:3], v[12:13] op_sel_hi:[0,1,1]
	v_pk_add_f32 v[0:1], v[8:9], v[0:1] neg_lo:[0,1] neg_hi:[0,1]
	v_mov_b32_e32 v11, v13
	v_pk_fma_f32 v[0:1], v[6:7], v[2:3], v[0:1] op_sel_hi:[0,1,1]
	ds_write_b64 v36, v[10:11] offset:1584
	ds_write_b64 v4, v[0:1] offset:3168
	s_waitcnt lgkmcnt(0)
	s_barrier
	s_barrier
	ds_read2_b64 v[0:3], v36 offset1:54
	ds_read2_b64 v[16:19], v36 offset0:108 offset1:162
	ds_read2_b64 v[12:15], v23 offset0:88 offset1:142
	ds_read2_b64 v[8:11], v37 offset0:68 offset1:122
	ds_read2_b64 v[4:7], v37 offset0:176 offset1:230
	ds_read_b64 v[34:35], v36 offset:4320
	s_waitcnt lgkmcnt(0)
	s_barrier
	s_and_saveexec_b64 s[2:3], vcc
	s_cbranch_execz .LBB0_19
; %bb.18:
	v_pk_add_f32 v[38:39], v[2:3], v[34:35] neg_lo:[0,1] neg_hi:[0,1]
	v_pk_add_f32 v[32:33], v[34:35], v[2:3]
	v_pk_add_f32 v[2:3], v[0:1], v[2:3]
	s_mov_b32 s26, 0x3f575c64
	v_pk_add_f32 v[2:3], v[2:3], v[16:17]
	s_movk_i32 s6, 0x50
	v_pk_add_f32 v[2:3], v[2:3], v[18:19]
	v_mov_b32_e32 v50, v32
	v_pk_add_f32 v[2:3], v[2:3], v[12:13]
	v_mov_b32_e32 v51, v38
	v_pk_add_f32 v[2:3], v[2:3], v[14:15]
	s_mov_b32 s27, 0xbf0a6770
	v_pk_add_f32 v[2:3], v[2:3], v[8:9]
	v_mad_u32_u24 v124, v22, s6, v36
	v_pk_add_f32 v[2:3], v[2:3], v[10:11]
	v_mov_b32_e32 v32, v39
	v_pk_add_f32 v[2:3], v[2:3], v[4:5]
	s_mov_b32 s6, s27
	v_pk_add_f32 v[2:3], v[2:3], v[6:7]
	s_mov_b32 s7, s26
	v_pk_add_f32 v[48:49], v[2:3], v[34:35]
	v_pk_mul_f32 v[2:3], v[50:51], s[26:27]
	v_pk_add_f32 v[40:41], v[16:17], v[6:7] neg_lo:[0,1] neg_hi:[0,1]
	v_pk_add_f32 v[30:31], v[6:7], v[16:17]
	v_pk_add_f32 v[42:43], v[18:19], v[4:5] neg_lo:[0,1] neg_hi:[0,1]
	v_pk_add_f32 v[28:29], v[4:5], v[18:19]
	v_pk_fma_f32 v[6:7], v[32:33], s[6:7], v[2:3] neg_lo:[1,0,0] neg_hi:[1,0,0]
	v_pk_fma_f32 v[4:5], v[32:33], s[6:7], v[2:3]
	v_mov_b32_e32 v38, v30
	v_mov_b32_e32 v7, v5
	;; [unrolled: 1-line block ×3, first 2 shown]
	s_mov_b32 s21, 0xbf68dda4
	s_mov_b32 s20, 0x3ed4b147
	v_pk_add_f32 v[44:45], v[12:13], v[10:11] neg_lo:[0,1] neg_hi:[0,1]
	v_pk_add_f32 v[26:27], v[10:11], v[12:13]
	v_pk_add_f32 v[10:11], v[0:1], v[6:7]
	v_pk_mul_f32 v[6:7], v[38:39], s[20:21]
	v_mov_b32_e32 v30, v41
	s_mov_b32 s8, s21
	s_mov_b32 s9, s20
	v_pk_add_f32 v[46:47], v[14:15], v[8:9] neg_lo:[0,1] neg_hi:[0,1]
	v_pk_add_f32 v[24:25], v[8:9], v[14:15]
	v_pk_fma_f32 v[12:13], v[30:31], s[8:9], v[6:7] neg_lo:[1,0,0] neg_hi:[1,0,0]
	v_pk_fma_f32 v[8:9], v[30:31], s[8:9], v[6:7]
	s_mov_b32 s24, 0xbe11bafb
	v_mov_b32_e32 v13, v9
	v_mov_b32_e32 v40, v28
	v_mov_b32_e32 v41, v42
	s_mov_b32 s25, 0xbf7d64f0
	v_pk_add_f32 v[14:15], v[12:13], v[10:11]
	v_pk_mul_f32 v[10:11], v[40:41], s[24:25]
	v_mov_b32_e32 v28, v43
	s_mov_b32 s10, s25
	s_mov_b32 s11, s24
	v_pk_fma_f32 v[16:17], v[28:29], s[10:11], v[10:11] neg_lo:[1,0,0] neg_hi:[1,0,0]
	v_pk_fma_f32 v[12:13], v[28:29], s[10:11], v[10:11]
	s_mov_b32 s28, 0xbf27a4f4
	v_mov_b32_e32 v17, v13
	v_mov_b32_e32 v42, v26
	v_mov_b32_e32 v43, v44
	s_mov_b32 s29, 0xbf4178ce
	v_pk_add_f32 v[18:19], v[16:17], v[14:15]
	v_pk_mul_f32 v[14:15], v[42:43], s[28:29]
	v_mov_b32_e32 v26, v45
	s_mov_b32 s12, s29
	s_mov_b32 s13, s28
	;; [unrolled: 12-line block ×3, first 2 shown]
	v_pk_fma_f32 v[46:47], v[24:25], s[14:15], v[18:19] neg_lo:[1,0,0] neg_hi:[1,0,0]
	v_pk_fma_f32 v[34:35], v[24:25], s[14:15], v[18:19]
	v_pk_mul_f32 v[54:55], v[38:39], s[28:29]
	v_mov_b32_e32 v47, v35
	v_pk_add_f32 v[44:45], v[46:47], v[44:45]
	ds_write2_b64 v124, v[48:49], v[44:45] offset1:1
	v_pk_mul_f32 v[44:45], v[50:51], s[20:21]
	v_pk_fma_f32 v[56:57], v[30:31], s[12:13], v[54:55] neg_lo:[1,0,0] neg_hi:[1,0,0]
	v_pk_fma_f32 v[46:47], v[32:33], s[8:9], v[44:45] neg_lo:[1,0,0] neg_hi:[1,0,0]
	v_pk_fma_f32 v[48:49], v[32:33], s[8:9], v[44:45]
	v_pk_fma_f32 v[58:59], v[30:31], s[12:13], v[54:55]
	v_mov_b32_e32 v47, v49
	v_pk_add_f32 v[46:47], v[0:1], v[46:47]
	v_mov_b32_e32 v57, v59
	s_mov_b32 s31, 0x3e903f40
	s_mov_b32 s30, s34
	v_pk_add_f32 v[46:47], v[56:57], v[46:47]
	v_pk_mul_f32 v[56:57], v[40:41], s[30:31]
	s_mov_b32 s16, s31
	s_mov_b32 s17, s34
	v_pk_fma_f32 v[60:61], v[28:29], s[16:17], v[56:57] neg_lo:[1,0,0] neg_hi:[1,0,0]
	v_pk_fma_f32 v[62:63], v[28:29], s[16:17], v[56:57]
	s_mov_b32 s37, 0x3f7d64f0
	v_mov_b32_e32 v61, v63
	s_mov_b32 s36, s24
	v_pk_add_f32 v[46:47], v[60:61], v[46:47]
	s_mov_b32 s18, s37
	s_mov_b32 s19, s24
	v_pk_mul_f32 v[60:61], v[42:43], s[36:37]
	s_mov_b32 s39, 0x3f0a6770
	v_pk_fma_f32 v[64:65], v[26:27], s[18:19], v[60:61] neg_lo:[1,0,0] neg_hi:[1,0,0]
	v_pk_fma_f32 v[66:67], v[26:27], s[18:19], v[60:61]
	s_mov_b32 s38, s26
	v_mov_b32_e32 v65, v67
	v_pk_add_f32 v[46:47], v[64:65], v[46:47]
	s_mov_b32 s22, s39
	s_mov_b32 s23, s26
	v_pk_mul_f32 v[64:65], v[52:53], s[38:39]
	v_pk_mul_f32 v[76:77], v[38:39], s[30:31]
	v_pk_fma_f32 v[68:69], v[24:25], s[22:23], v[64:65] neg_lo:[1,0,0] neg_hi:[1,0,0]
	v_pk_fma_f32 v[70:71], v[24:25], s[22:23], v[64:65]
	v_pk_fma_f32 v[78:79], v[30:31], s[16:17], v[76:77] neg_lo:[1,0,0] neg_hi:[1,0,0]
	v_mov_b32_e32 v69, v71
	v_pk_add_f32 v[46:47], v[68:69], v[46:47]
	v_pk_mul_f32 v[68:69], v[50:51], s[24:25]
	v_pk_fma_f32 v[80:81], v[30:31], s[16:17], v[76:77]
	v_pk_fma_f32 v[72:73], v[32:33], s[10:11], v[68:69] neg_lo:[1,0,0] neg_hi:[1,0,0]
	v_pk_fma_f32 v[74:75], v[32:33], s[10:11], v[68:69]
	v_mov_b32_e32 v79, v81
	v_mov_b32_e32 v73, v75
	v_pk_add_f32 v[72:73], v[0:1], v[72:73]
	s_mov_b32 s21, 0x3f68dda4
	v_pk_add_f32 v[72:73], v[78:79], v[72:73]
	s_mov_b32 s30, s21
	s_mov_b32 s31, s20
	v_pk_mul_f32 v[78:79], v[40:41], s[20:21]
	v_pk_mul_f32 v[94:95], v[38:39], s[36:37]
	v_pk_fma_f32 v[82:83], v[28:29], s[30:31], v[78:79] neg_lo:[1,0,0] neg_hi:[1,0,0]
	v_pk_fma_f32 v[84:85], v[28:29], s[30:31], v[78:79]
	v_pk_fma_f32 v[96:97], v[30:31], s[18:19], v[94:95] neg_lo:[1,0,0] neg_hi:[1,0,0]
	v_mov_b32_e32 v83, v85
	v_pk_add_f32 v[72:73], v[82:83], v[72:73]
	v_pk_mul_f32 v[82:83], v[42:43], s[26:27]
	v_pk_fma_f32 v[98:99], v[30:31], s[18:19], v[94:95]
	v_pk_fma_f32 v[86:87], v[26:27], s[6:7], v[82:83] neg_lo:[1,0,0] neg_hi:[1,0,0]
	v_pk_fma_f32 v[88:89], v[26:27], s[6:7], v[82:83]
	v_mov_b32_e32 v97, v99
	v_mov_b32_e32 v87, v89
	v_pk_add_f32 v[72:73], v[86:87], v[72:73]
	v_pk_mul_f32 v[86:87], v[52:53], s[28:29]
	v_pk_mul_f32 v[38:39], v[38:39], s[38:39]
	v_pk_fma_f32 v[90:91], v[24:25], s[12:13], v[86:87] neg_lo:[1,0,0] neg_hi:[1,0,0]
	v_pk_fma_f32 v[92:93], v[24:25], s[12:13], v[86:87]
	v_pk_fma_f32 v[114:115], v[30:31], s[22:23], v[38:39] neg_lo:[1,0,0] neg_hi:[1,0,0]
	v_mov_b32_e32 v91, v93
	v_pk_add_f32 v[72:73], v[90:91], v[72:73]
	ds_write2_b64 v124, v[46:47], v[72:73] offset0:2 offset1:3
	v_pk_mul_f32 v[46:47], v[50:51], s[28:29]
	v_pk_mul_f32 v[50:51], v[50:51], s[34:35]
	v_pk_fma_f32 v[72:73], v[32:33], s[12:13], v[46:47] neg_lo:[1,0,0] neg_hi:[1,0,0]
	v_pk_fma_f32 v[90:91], v[32:33], s[12:13], v[46:47]
	v_pk_fma_f32 v[112:113], v[32:33], s[14:15], v[50:51]
	v_mov_b32_e32 v73, v91
	v_pk_add_f32 v[72:73], v[0:1], v[72:73]
	v_pk_fma_f32 v[116:117], v[30:31], s[22:23], v[38:39]
	v_pk_add_f32 v[72:73], v[96:97], v[72:73]
	v_pk_mul_f32 v[96:97], v[40:41], s[26:27]
	v_mov_b32_e32 v115, v117
	v_pk_fma_f32 v[100:101], v[28:29], s[6:7], v[96:97] neg_lo:[1,0,0] neg_hi:[1,0,0]
	v_pk_fma_f32 v[102:103], v[28:29], s[6:7], v[96:97]
	v_pk_mul_f32 v[40:41], v[40:41], s[28:29]
	v_mov_b32_e32 v101, v103
	v_pk_add_f32 v[72:73], v[100:101], v[72:73]
	v_pk_mul_f32 v[100:101], v[42:43], s[34:35]
	v_pk_fma_f32 v[118:119], v[28:29], s[12:13], v[40:41]
	v_pk_fma_f32 v[104:105], v[26:27], s[14:15], v[100:101] neg_lo:[1,0,0] neg_hi:[1,0,0]
	v_pk_fma_f32 v[106:107], v[26:27], s[14:15], v[100:101]
	v_pk_mul_f32 v[42:43], v[42:43], s[20:21]
	v_mov_b32_e32 v105, v107
	v_pk_add_f32 v[72:73], v[104:105], v[72:73]
	v_pk_mul_f32 v[104:105], v[52:53], s[20:21]
	v_pk_fma_f32 v[120:121], v[26:27], s[30:31], v[42:43]
	v_pk_fma_f32 v[108:109], v[24:25], s[30:31], v[104:105] neg_lo:[1,0,0] neg_hi:[1,0,0]
	v_pk_fma_f32 v[110:111], v[24:25], s[30:31], v[104:105]
	v_pk_mul_f32 v[52:53], v[52:53], s[24:25]
	v_mov_b32_e32 v109, v111
	v_pk_add_f32 v[72:73], v[108:109], v[72:73]
	v_pk_fma_f32 v[108:109], v[32:33], s[14:15], v[50:51] neg_lo:[1,0,0] neg_hi:[1,0,0]
	v_pk_fma_f32 v[122:123], v[24:25], s[10:11], v[52:53]
	v_mov_b32_e32 v109, v113
	v_pk_add_f32 v[108:109], v[0:1], v[108:109]
	v_pk_fma_f32 v[50:51], v[32:33], s[14:15], v[50:51] neg_lo:[0,0,1] neg_hi:[0,0,1]
	v_pk_add_f32 v[108:109], v[114:115], v[108:109]
	v_pk_fma_f32 v[114:115], v[28:29], s[12:13], v[40:41] neg_lo:[1,0,0] neg_hi:[1,0,0]
	v_pk_fma_f32 v[40:41], v[28:29], s[12:13], v[40:41] neg_lo:[0,0,1] neg_hi:[0,0,1]
	v_mov_b32_e32 v115, v119
	v_pk_add_f32 v[108:109], v[114:115], v[108:109]
	v_pk_fma_f32 v[114:115], v[26:27], s[30:31], v[42:43] neg_lo:[1,0,0] neg_hi:[1,0,0]
	v_mov_b32_e32 v119, v41
	v_mov_b32_e32 v115, v121
	v_pk_fma_f32 v[40:41], v[26:27], s[30:31], v[42:43] neg_lo:[0,0,1] neg_hi:[0,0,1]
	v_pk_add_f32 v[108:109], v[114:115], v[108:109]
	v_pk_fma_f32 v[114:115], v[24:25], s[10:11], v[52:53] neg_lo:[1,0,0] neg_hi:[1,0,0]
	v_mov_b32_e32 v121, v41
	v_pk_fma_f32 v[40:41], v[24:25], s[10:11], v[52:53] neg_lo:[0,0,1] neg_hi:[0,0,1]
	v_mov_b32_e32 v115, v123
	v_mov_b32_e32 v123, v41
	v_pk_fma_f32 v[40:41], v[32:33], s[12:13], v[46:47] neg_lo:[0,0,1] neg_hi:[0,0,1]
	v_mov_b32_e32 v113, v51
	v_pk_fma_f32 v[38:39], v[30:31], s[22:23], v[38:39] neg_lo:[0,0,1] neg_hi:[0,0,1]
	;; [unrolled: 2-line block ×3, first 2 shown]
	v_mov_b32_e32 v117, v39
	v_pk_add_f32 v[38:39], v[0:1], v[112:113]
	v_mov_b32_e32 v99, v41
	v_pk_add_f32 v[40:41], v[0:1], v[90:91]
	v_pk_fma_f32 v[42:43], v[28:29], s[6:7], v[96:97] neg_lo:[0,0,1] neg_hi:[0,0,1]
	v_pk_add_f32 v[38:39], v[116:117], v[38:39]
	v_pk_add_f32 v[40:41], v[98:99], v[40:41]
	v_mov_b32_e32 v103, v43
	v_pk_fma_f32 v[42:43], v[26:27], s[14:15], v[100:101] neg_lo:[0,0,1] neg_hi:[0,0,1]
	v_pk_add_f32 v[38:39], v[118:119], v[38:39]
	v_pk_add_f32 v[40:41], v[102:103], v[40:41]
	v_mov_b32_e32 v107, v43
	;; [unrolled: 4-line block ×3, first 2 shown]
	v_pk_add_f32 v[38:39], v[122:123], v[38:39]
	v_pk_add_f32 v[40:41], v[110:111], v[40:41]
	ds_write2_b64 v124, v[38:39], v[40:41] offset0:6 offset1:7
	v_pk_fma_f32 v[40:41], v[28:29], s[30:31], v[78:79] neg_lo:[0,0,1] neg_hi:[0,0,1]
	v_pk_fma_f32 v[38:39], v[32:33], s[10:11], v[68:69] neg_lo:[0,0,1] neg_hi:[0,0,1]
	v_mov_b32_e32 v85, v41
	v_pk_fma_f32 v[40:41], v[26:27], s[6:7], v[82:83] neg_lo:[0,0,1] neg_hi:[0,0,1]
	v_pk_fma_f32 v[2:3], v[32:33], s[6:7], v[2:3] neg_lo:[0,0,1] neg_hi:[0,0,1]
	v_mov_b32_e32 v89, v41
	v_pk_fma_f32 v[40:41], v[24:25], s[12:13], v[86:87] neg_lo:[0,0,1] neg_hi:[0,0,1]
	v_mov_b32_e32 v75, v39
	v_mov_b32_e32 v93, v41
	v_pk_fma_f32 v[40:41], v[32:33], s[8:9], v[44:45] neg_lo:[0,0,1] neg_hi:[0,0,1]
	v_pk_fma_f32 v[38:39], v[30:31], s[16:17], v[76:77] neg_lo:[0,0,1] neg_hi:[0,0,1]
	v_mov_b32_e32 v49, v41
	v_pk_fma_f32 v[42:43], v[30:31], s[12:13], v[54:55] neg_lo:[0,0,1] neg_hi:[0,0,1]
	v_mov_b32_e32 v5, v3
	;; [unrolled: 2-line block ×3, first 2 shown]
	v_pk_add_f32 v[38:39], v[0:1], v[74:75]
	v_pk_add_f32 v[40:41], v[0:1], v[48:49]
	v_mov_b32_e32 v59, v43
	v_pk_fma_f32 v[42:43], v[28:29], s[16:17], v[56:57] neg_lo:[0,0,1] neg_hi:[0,0,1]
	v_pk_add_f32 v[0:1], v[0:1], v[4:5]
	v_mov_b32_e32 v9, v3
	v_pk_fma_f32 v[2:3], v[28:29], s[10:11], v[10:11] neg_lo:[0,0,1] neg_hi:[0,0,1]
	v_pk_add_f32 v[38:39], v[80:81], v[38:39]
	v_pk_add_f32 v[40:41], v[58:59], v[40:41]
	v_mov_b32_e32 v63, v43
	v_pk_fma_f32 v[42:43], v[26:27], s[18:19], v[60:61] neg_lo:[0,0,1] neg_hi:[0,0,1]
	v_pk_add_f32 v[0:1], v[8:9], v[0:1]
	v_mov_b32_e32 v13, v3
	v_pk_fma_f32 v[2:3], v[26:27], s[12:13], v[14:15] neg_lo:[0,0,1] neg_hi:[0,0,1]
	;; [unrolled: 7-line block ×3, first 2 shown]
	v_pk_add_f32 v[38:39], v[88:89], v[38:39]
	v_pk_add_f32 v[40:41], v[66:67], v[40:41]
	v_mov_b32_e32 v71, v43
	v_pk_add_f32 v[0:1], v[16:17], v[0:1]
	v_mov_b32_e32 v35, v3
	v_pk_add_f32 v[108:109], v[114:115], v[108:109]
	v_pk_add_f32 v[38:39], v[92:93], v[38:39]
	;; [unrolled: 1-line block ×4, first 2 shown]
	ds_write2_b64 v124, v[72:73], v[108:109] offset0:4 offset1:5
	ds_write2_b64 v124, v[38:39], v[40:41] offset0:8 offset1:9
	ds_write_b64 v124, v[0:1] offset:80
.LBB0_19:
	s_or_b64 exec, exec, s[2:3]
	s_movk_i32 s2, 0x75
	v_mul_lo_u16_sdwa v0, v22, s2 dst_sel:DWORD dst_unused:UNUSED_PAD src0_sel:BYTE_0 src1_sel:DWORD
	v_sub_u16_sdwa v1, v22, v0 dst_sel:DWORD dst_unused:UNUSED_PAD src0_sel:DWORD src1_sel:BYTE_1
	v_lshrrev_b16_e32 v1, 1, v1
	v_and_b32_e32 v1, 0x7f, v1
	v_add_u16_sdwa v0, v1, v0 dst_sel:DWORD dst_unused:UNUSED_PAD src0_sel:DWORD src1_sel:BYTE_1
	v_lshrrev_b16_e32 v24, 3, v0
	v_add_u32_e32 v34, 0x63, v22
	v_mul_lo_u16_e32 v0, 11, v24
	v_sub_u16_e32 v25, v22, v0
	v_mul_lo_u16_sdwa v0, v34, s2 dst_sel:DWORD dst_unused:UNUSED_PAD src0_sel:BYTE_0 src1_sel:DWORD
	v_sub_u16_sdwa v1, v34, v0 dst_sel:DWORD dst_unused:UNUSED_PAD src0_sel:DWORD src1_sel:BYTE_1
	v_lshrrev_b16_e32 v1, 1, v1
	v_and_b32_e32 v1, 0x7f, v1
	v_add_u16_sdwa v0, v1, v0 dst_sel:DWORD dst_unused:UNUSED_PAD src0_sel:DWORD src1_sel:BYTE_1
	v_lshrrev_b16_e32 v26, 3, v0
	v_mul_lo_u16_e32 v0, 11, v26
	v_mov_b32_e32 v4, 4
	v_sub_u16_e32 v27, v34, v0
	v_lshlrev_b32_sdwa v0, v4, v27 dst_sel:DWORD dst_unused:UNUSED_PAD src0_sel:DWORD src1_sel:BYTE_0
	v_lshlrev_b32_sdwa v4, v4, v25 dst_sel:DWORD dst_unused:UNUSED_PAD src0_sel:DWORD src1_sel:BYTE_0
	s_waitcnt lgkmcnt(0)
	s_barrier
	global_load_dwordx4 v[0:3], v0, s[4:5]
	s_movk_i32 s6, 0xf9
	global_load_dwordx4 v[4:7], v4, s[4:5]
	ds_read2_b64 v[8:11], v36 offset0:99 offset1:198
	ds_read2_b64 v[12:15], v37 offset0:41 offset1:140
	ds_read2_b32 v[16:17], v36 offset1:1
	ds_read_b64 v[18:19], v36 offset:3960
	v_mul_lo_u16_sdwa v29, v22, s6 dst_sel:DWORD dst_unused:UNUSED_PAD src0_sel:BYTE_0 src1_sel:DWORD
	v_lshrrev_b16_e32 v38, 13, v29
	v_mul_lo_u16_e32 v29, 33, v38
	v_mov_b32_e32 v35, 3
	v_mov_b32_e32 v28, 5
	v_sub_u16_e32 v39, v22, v29
	v_mul_u32_u24_sdwa v28, v39, v28 dst_sel:DWORD dst_unused:UNUSED_PAD src0_sel:BYTE_0 src1_sel:DWORD
	v_mul_u32_u24_e32 v24, 0x108, v24
	v_mul_u32_u24_e32 v26, 0x108, v26
	v_lshlrev_b32_sdwa v25, v35, v25 dst_sel:DWORD dst_unused:UNUSED_PAD src0_sel:DWORD src1_sel:BYTE_0
	v_lshlrev_b32_sdwa v27, v35, v27 dst_sel:DWORD dst_unused:UNUSED_PAD src0_sel:DWORD src1_sel:BYTE_0
	v_lshlrev_b32_e32 v40, 3, v28
	v_add3_u32 v41, 0, v24, v25
	v_add3_u32 v42, 0, v26, v27
	s_mov_b32 s2, 0x3f5db3d7
	s_mov_b32 s3, 0xbf5db3d7
	s_waitcnt lgkmcnt(0)
	s_barrier
	s_waitcnt vmcnt(1)
	v_pk_mul_f32 v[24:25], v[0:1], v[12:13] op_sel:[0,1]
	v_pk_mul_f32 v[26:27], v[2:3], v[18:19] op_sel:[0,1]
	s_waitcnt vmcnt(0)
	v_pk_mul_f32 v[28:29], v[4:5], v[10:11] op_sel:[0,1]
	v_pk_mul_f32 v[30:31], v[6:7], v[14:15] op_sel:[0,1]
	v_pk_fma_f32 v[32:33], v[0:1], v[12:13], v[24:25] op_sel:[0,0,1] op_sel_hi:[1,1,0] neg_lo:[0,0,1] neg_hi:[0,0,1]
	v_pk_fma_f32 v[0:1], v[0:1], v[12:13], v[24:25] op_sel:[0,0,1] op_sel_hi:[1,0,0]
	v_pk_fma_f32 v[12:13], v[2:3], v[18:19], v[26:27] op_sel:[0,0,1] op_sel_hi:[1,1,0] neg_lo:[0,0,1] neg_hi:[0,0,1]
	v_pk_fma_f32 v[2:3], v[2:3], v[18:19], v[26:27] op_sel:[0,0,1] op_sel_hi:[1,0,0]
	v_pk_fma_f32 v[18:19], v[4:5], v[10:11], v[28:29] op_sel:[0,0,1] op_sel_hi:[1,1,0] neg_lo:[0,0,1] neg_hi:[0,0,1]
	v_pk_fma_f32 v[4:5], v[4:5], v[10:11], v[28:29] op_sel:[0,0,1] op_sel_hi:[1,0,0]
	v_pk_fma_f32 v[10:11], v[6:7], v[14:15], v[30:31] op_sel:[0,0,1] op_sel_hi:[1,1,0] neg_lo:[0,0,1] neg_hi:[0,0,1]
	v_pk_fma_f32 v[6:7], v[6:7], v[14:15], v[30:31] op_sel:[0,0,1] op_sel_hi:[1,0,0]
	v_mov_b32_e32 v33, v1
	v_mov_b32_e32 v13, v3
	;; [unrolled: 1-line block ×4, first 2 shown]
	v_pk_add_f32 v[2:3], v[18:19], v[16:17]
	v_pk_add_f32 v[4:5], v[18:19], v[10:11]
	v_pk_add_f32 v[6:7], v[18:19], v[10:11] neg_lo:[0,1] neg_hi:[0,1]
	v_pk_add_f32 v[14:15], v[32:33], v[12:13]
	v_pk_add_f32 v[18:19], v[32:33], v[12:13] neg_lo:[0,1] neg_hi:[0,1]
	v_pk_add_f32 v[0:1], v[8:9], v[32:33]
	v_pk_add_f32 v[2:3], v[2:3], v[10:11]
	v_pk_fma_f32 v[4:5], v[4:5], 0.5, v[16:17] op_sel_hi:[1,0,1] neg_lo:[1,0,0] neg_hi:[1,0,0]
	v_pk_mul_f32 v[6:7], v[6:7], s[2:3] op_sel_hi:[1,0]
	v_pk_fma_f32 v[8:9], v[14:15], 0.5, v[8:9] op_sel_hi:[1,0,1] neg_lo:[1,0,0] neg_hi:[1,0,0]
	v_pk_mul_f32 v[10:11], v[18:19], s[2:3] op_sel_hi:[1,0]
	v_pk_add_f32 v[0:1], v[0:1], v[12:13]
	v_pk_add_f32 v[12:13], v[4:5], v[6:7] op_sel:[0,1] op_sel_hi:[1,0]
	v_pk_add_f32 v[4:5], v[4:5], v[6:7] op_sel:[0,1] op_sel_hi:[1,0] neg_lo:[0,1] neg_hi:[0,1]
	v_pk_add_f32 v[6:7], v[8:9], v[10:11] op_sel:[0,1] op_sel_hi:[1,0]
	v_pk_add_f32 v[8:9], v[8:9], v[10:11] op_sel:[0,1] op_sel_hi:[1,0] neg_lo:[0,1] neg_hi:[0,1]
	v_mov_b32_e32 v10, v12
	v_mov_b32_e32 v11, v5
	;; [unrolled: 1-line block ×6, first 2 shown]
	ds_write2_b64 v41, v[2:3], v[10:11] offset1:11
	ds_write_b64 v41, v[4:5] offset:176
	ds_write2_b64 v42, v[0:1], v[12:13] offset1:11
	ds_write_b64 v42, v[8:9] offset:176
	s_waitcnt lgkmcnt(0)
	s_barrier
	global_load_dwordx4 v[2:5], v40, s[4:5] offset:176
	global_load_dwordx4 v[6:9], v40, s[4:5] offset:192
	global_load_dwordx2 v[18:19], v40, s[4:5] offset:208
	v_mul_u32_u24_e32 v10, 0x630, v38
	v_lshlrev_b32_sdwa v11, v35, v39 dst_sel:DWORD dst_unused:UNUSED_PAD src0_sel:DWORD src1_sel:BYTE_0
	v_add3_u32 v44, 0, v10, v11
	ds_read2_b64 v[10:13], v36 offset1:99
	ds_read2_b64 v[14:17], v23 offset0:70 offset1:169
	ds_read2_b64 v[24:27], v37 offset0:140 offset1:239
	v_lshlrev_b32_e32 v0, 1, v22
	v_mov_b32_e32 v1, 0
	v_lshl_add_u64 v[28:29], v[0:1], 3, s[4:5]
	v_lshlrev_b32_e32 v0, 1, v34
	s_waitcnt lgkmcnt(0)
	s_barrier
	s_waitcnt vmcnt(2)
	v_pk_mul_f32 v[30:31], v[2:3], v[12:13] op_sel:[0,1]
	v_pk_mul_f32 v[32:33], v[4:5], v[14:15] op_sel:[0,1]
	s_waitcnt vmcnt(1)
	v_pk_mul_f32 v[34:35], v[6:7], v[16:17] op_sel:[0,1]
	v_pk_mul_f32 v[38:39], v[8:9], v[24:25] op_sel:[0,1]
	s_waitcnt vmcnt(0)
	v_pk_mul_f32 v[40:41], v[18:19], v[26:27] op_sel:[0,1]
	v_pk_fma_f32 v[42:43], v[2:3], v[12:13], v[30:31] op_sel:[0,0,1] op_sel_hi:[1,1,0] neg_lo:[0,0,1] neg_hi:[0,0,1]
	v_pk_fma_f32 v[2:3], v[2:3], v[12:13], v[30:31] op_sel:[0,0,1] op_sel_hi:[1,0,0]
	v_pk_fma_f32 v[12:13], v[4:5], v[14:15], v[32:33] op_sel:[0,0,1] op_sel_hi:[1,1,0] neg_lo:[0,0,1] neg_hi:[0,0,1]
	v_pk_fma_f32 v[4:5], v[4:5], v[14:15], v[32:33] op_sel:[0,0,1] op_sel_hi:[1,0,0]
	;; [unrolled: 2-line block ×5, first 2 shown]
	v_mov_b32_e32 v13, v5
	v_mov_b32_e32 v15, v7
	;; [unrolled: 1-line block ×5, first 2 shown]
	v_pk_add_f32 v[2:3], v[10:11], v[12:13]
	v_pk_add_f32 v[6:7], v[12:13], v[16:17]
	v_pk_add_f32 v[8:9], v[12:13], v[16:17] neg_lo:[0,1] neg_hi:[0,1]
	v_pk_add_f32 v[12:13], v[14:15], v[24:25]
	v_pk_add_f32 v[4:5], v[42:43], v[14:15]
	v_pk_add_f32 v[14:15], v[14:15], v[24:25] neg_lo:[0,1] neg_hi:[0,1]
	v_pk_fma_f32 v[6:7], v[6:7], 0.5, v[10:11] op_sel_hi:[1,0,1] neg_lo:[1,0,0] neg_hi:[1,0,0]
	v_pk_mul_f32 v[8:9], v[8:9], s[2:3] op_sel_hi:[1,0]
	v_pk_fma_f32 v[10:11], v[12:13], 0.5, v[42:43] op_sel_hi:[1,0,1] neg_lo:[1,0,0] neg_hi:[1,0,0]
	v_pk_add_f32 v[2:3], v[2:3], v[16:17]
	v_pk_add_f32 v[4:5], v[4:5], v[24:25]
	v_pk_add_f32 v[16:17], v[8:9], v[6:7] op_sel:[1,0] op_sel_hi:[0,1]
	v_pk_add_f32 v[6:7], v[6:7], v[8:9] op_sel:[0,1] op_sel_hi:[1,0] neg_lo:[0,1] neg_hi:[0,1]
	v_pk_fma_f32 v[8:9], v[14:15], s[2:3], v[10:11] op_sel:[0,0,1] op_sel_hi:[1,0,0]
	v_pk_fma_f32 v[10:11], v[14:15], s[2:3], v[10:11] op_sel:[0,0,1] op_sel_hi:[1,0,0] neg_lo:[1,0,0] neg_hi:[1,0,0]
	v_pk_add_f32 v[12:13], v[2:3], v[4:5]
	v_pk_add_f32 v[2:3], v[2:3], v[4:5] neg_lo:[0,1] neg_hi:[0,1]
	v_mov_b32_e32 v4, v6
	v_mov_b32_e32 v14, v8
	;; [unrolled: 1-line block ×3, first 2 shown]
	v_mul_f32_e32 v6, 0x3f5db3d7, v10
	v_mov_b32_e32 v5, v17
	v_mul_f32_e32 v17, 0xbf5db3d7, v9
	v_fmac_f32_e32 v6, 0.5, v9
	v_pk_mul_f32 v[8:9], v[14:15], 0.5 op_sel_hi:[1,0]
	v_fmac_f32_e32 v17, 0.5, v10
	v_pk_fma_f32 v[8:9], v[14:15], s[2:3], v[8:9] op_sel:[0,0,1] op_sel_hi:[1,1,0] neg_lo:[0,0,1] neg_hi:[0,0,1]
	v_add_f32_e32 v10, v16, v6
	v_add_f32_e32 v11, v7, v17
	v_sub_f32_e32 v6, v16, v6
	v_sub_f32_e32 v7, v7, v17
	v_pk_add_f32 v[14:15], v[4:5], v[8:9]
	ds_write2_b64 v44, v[12:13], v[10:11] offset1:33
	v_pk_add_f32 v[4:5], v[4:5], v[8:9] neg_lo:[0,1] neg_hi:[0,1]
	ds_write2_b64 v44, v[14:15], v[2:3] offset0:66 offset1:99
	ds_write2_b64 v44, v[6:7], v[4:5] offset0:132 offset1:165
	v_lshl_add_u64 v[6:7], v[0:1], 3, s[4:5]
	s_waitcnt lgkmcnt(0)
	s_barrier
	global_load_dwordx4 v[2:5], v[28:29], off offset:1496
	s_nop 0
	global_load_dwordx4 v[6:9], v[6:7], off offset:1496
	ds_read2_b64 v[10:13], v36 offset1:99
	ds_read2_b64 v[14:17], v23 offset0:70 offset1:169
	ds_read2_b64 v[24:27], v37 offset0:140 offset1:239
	s_waitcnt lgkmcnt(0)
	s_barrier
	s_waitcnt vmcnt(1)
	v_pk_mul_f32 v[18:19], v[2:3], v[14:15] op_sel:[0,1]
	v_pk_mul_f32 v[28:29], v[4:5], v[24:25] op_sel:[0,1]
	s_waitcnt vmcnt(0)
	v_pk_mul_f32 v[30:31], v[6:7], v[16:17] op_sel:[0,1]
	v_pk_mul_f32 v[32:33], v[8:9], v[26:27] op_sel:[0,1]
	v_pk_fma_f32 v[34:35], v[2:3], v[14:15], v[18:19] op_sel:[0,0,1] op_sel_hi:[1,1,0] neg_lo:[0,0,1] neg_hi:[0,0,1]
	v_pk_fma_f32 v[2:3], v[2:3], v[14:15], v[18:19] op_sel:[0,0,1] op_sel_hi:[1,0,0]
	v_pk_fma_f32 v[14:15], v[4:5], v[24:25], v[28:29] op_sel:[0,0,1] op_sel_hi:[1,1,0] neg_lo:[0,0,1] neg_hi:[0,0,1]
	v_pk_fma_f32 v[4:5], v[4:5], v[24:25], v[28:29] op_sel:[0,0,1] op_sel_hi:[1,0,0]
	;; [unrolled: 2-line block ×4, first 2 shown]
	v_mov_b32_e32 v35, v3
	v_mov_b32_e32 v15, v5
	;; [unrolled: 1-line block ×4, first 2 shown]
	v_pk_add_f32 v[2:3], v[34:35], v[10:11]
	v_pk_add_f32 v[4:5], v[12:13], v[18:19]
	;; [unrolled: 1-line block ×3, first 2 shown]
	v_pk_add_f32 v[8:9], v[34:35], v[14:15] neg_lo:[0,1] neg_hi:[0,1]
	v_pk_add_f32 v[24:25], v[18:19], v[16:17]
	v_pk_add_f32 v[18:19], v[18:19], v[16:17] neg_lo:[0,1] neg_hi:[0,1]
	v_pk_add_f32 v[2:3], v[2:3], v[14:15]
	v_pk_add_f32 v[4:5], v[4:5], v[16:17]
	v_pk_fma_f32 v[6:7], v[6:7], 0.5, v[10:11] op_sel_hi:[1,0,1] neg_lo:[1,0,0] neg_hi:[1,0,0]
	v_pk_mul_f32 v[8:9], v[8:9], s[2:3] op_sel_hi:[1,0]
	v_pk_fma_f32 v[10:11], v[24:25], 0.5, v[12:13] op_sel_hi:[1,0,1] neg_lo:[1,0,0] neg_hi:[1,0,0]
	v_pk_mul_f32 v[12:13], v[18:19], s[2:3] op_sel_hi:[1,0]
	v_pk_add_f32 v[14:15], v[6:7], v[8:9] op_sel:[0,1] op_sel_hi:[1,0]
	v_pk_add_f32 v[6:7], v[6:7], v[8:9] op_sel:[0,1] op_sel_hi:[1,0] neg_lo:[0,1] neg_hi:[0,1]
	ds_write2_b64 v36, v[2:3], v[4:5] offset1:99
	v_pk_add_f32 v[2:3], v[10:11], v[12:13] op_sel:[0,1] op_sel_hi:[1,0]
	v_pk_add_f32 v[4:5], v[10:11], v[12:13] op_sel:[0,1] op_sel_hi:[1,0] neg_lo:[0,1] neg_hi:[0,1]
	v_mov_b32_e32 v8, v14
	v_mov_b32_e32 v9, v7
	;; [unrolled: 1-line block ×6, first 2 shown]
	ds_write2_b64 v23, v[8:9], v[10:11] offset0:70 offset1:169
	ds_write2_b64 v37, v[6:7], v[4:5] offset0:140 offset1:239
	s_waitcnt lgkmcnt(0)
	s_barrier
	s_and_saveexec_b64 s[2:3], s[0:1]
	s_cbranch_execz .LBB0_21
; %bb.20:
	v_lshl_add_u32 v10, v22, 3, 0
	ds_read2_b64 v[2:5], v10 offset1:99
	v_mov_b32_e32 v23, v1
	v_lshl_add_u64 v[6:7], v[22:23], 3, v[20:21]
	v_add_u32_e32 v8, 0x400, v10
	v_add_u32_e32 v0, 0x63, v22
	s_waitcnt lgkmcnt(0)
	global_store_dwordx2 v[6:7], v[2:3], off
	ds_read2_b64 v[6:9], v8 offset0:70 offset1:169
	v_lshl_add_u64 v[2:3], v[0:1], 3, v[20:21]
	v_add_u32_e32 v0, 0xc6, v22
	global_store_dwordx2 v[2:3], v[4:5], off
	v_lshl_add_u64 v[2:3], v[0:1], 3, v[20:21]
	s_waitcnt lgkmcnt(0)
	global_store_dwordx2 v[2:3], v[6:7], off
	v_add_u32_e32 v2, 0x800, v10
	ds_read2_b64 v[2:5], v2 offset0:140 offset1:239
	v_add_u32_e32 v0, 0x129, v22
	v_lshl_add_u64 v[6:7], v[0:1], 3, v[20:21]
	v_add_u32_e32 v0, 0x18c, v22
	global_store_dwordx2 v[6:7], v[8:9], off
	v_lshl_add_u64 v[6:7], v[0:1], 3, v[20:21]
	v_add_u32_e32 v0, 0x1ef, v22
	v_lshl_add_u64 v[0:1], v[0:1], 3, v[20:21]
	s_waitcnt lgkmcnt(0)
	global_store_dwordx2 v[6:7], v[2:3], off
	global_store_dwordx2 v[0:1], v[4:5], off
.LBB0_21:
	s_endpgm
	.section	.rodata,"a",@progbits
	.p2align	6, 0x0
	.amdhsa_kernel fft_rtc_fwd_len594_factors_11_3_6_3_wgs_99_tpt_99_sp_ip_CI_unitstride_sbrr_C2R_dirReg
		.amdhsa_group_segment_fixed_size 0
		.amdhsa_private_segment_fixed_size 0
		.amdhsa_kernarg_size 88
		.amdhsa_user_sgpr_count 2
		.amdhsa_user_sgpr_dispatch_ptr 0
		.amdhsa_user_sgpr_queue_ptr 0
		.amdhsa_user_sgpr_kernarg_segment_ptr 1
		.amdhsa_user_sgpr_dispatch_id 0
		.amdhsa_user_sgpr_kernarg_preload_length 0
		.amdhsa_user_sgpr_kernarg_preload_offset 0
		.amdhsa_user_sgpr_private_segment_size 0
		.amdhsa_uses_dynamic_stack 0
		.amdhsa_enable_private_segment 0
		.amdhsa_system_sgpr_workgroup_id_x 1
		.amdhsa_system_sgpr_workgroup_id_y 0
		.amdhsa_system_sgpr_workgroup_id_z 0
		.amdhsa_system_sgpr_workgroup_info 0
		.amdhsa_system_vgpr_workitem_id 0
		.amdhsa_next_free_vgpr 125
		.amdhsa_next_free_sgpr 40
		.amdhsa_accum_offset 128
		.amdhsa_reserve_vcc 1
		.amdhsa_float_round_mode_32 0
		.amdhsa_float_round_mode_16_64 0
		.amdhsa_float_denorm_mode_32 3
		.amdhsa_float_denorm_mode_16_64 3
		.amdhsa_dx10_clamp 1
		.amdhsa_ieee_mode 1
		.amdhsa_fp16_overflow 0
		.amdhsa_tg_split 0
		.amdhsa_exception_fp_ieee_invalid_op 0
		.amdhsa_exception_fp_denorm_src 0
		.amdhsa_exception_fp_ieee_div_zero 0
		.amdhsa_exception_fp_ieee_overflow 0
		.amdhsa_exception_fp_ieee_underflow 0
		.amdhsa_exception_fp_ieee_inexact 0
		.amdhsa_exception_int_div_zero 0
	.end_amdhsa_kernel
	.text
.Lfunc_end0:
	.size	fft_rtc_fwd_len594_factors_11_3_6_3_wgs_99_tpt_99_sp_ip_CI_unitstride_sbrr_C2R_dirReg, .Lfunc_end0-fft_rtc_fwd_len594_factors_11_3_6_3_wgs_99_tpt_99_sp_ip_CI_unitstride_sbrr_C2R_dirReg
                                        ; -- End function
	.section	.AMDGPU.csdata,"",@progbits
; Kernel info:
; codeLenInByte = 5640
; NumSgprs: 46
; NumVgprs: 125
; NumAgprs: 0
; TotalNumVgprs: 125
; ScratchSize: 0
; MemoryBound: 0
; FloatMode: 240
; IeeeMode: 1
; LDSByteSize: 0 bytes/workgroup (compile time only)
; SGPRBlocks: 5
; VGPRBlocks: 15
; NumSGPRsForWavesPerEU: 46
; NumVGPRsForWavesPerEU: 125
; AccumOffset: 128
; Occupancy: 4
; WaveLimiterHint : 1
; COMPUTE_PGM_RSRC2:SCRATCH_EN: 0
; COMPUTE_PGM_RSRC2:USER_SGPR: 2
; COMPUTE_PGM_RSRC2:TRAP_HANDLER: 0
; COMPUTE_PGM_RSRC2:TGID_X_EN: 1
; COMPUTE_PGM_RSRC2:TGID_Y_EN: 0
; COMPUTE_PGM_RSRC2:TGID_Z_EN: 0
; COMPUTE_PGM_RSRC2:TIDIG_COMP_CNT: 0
; COMPUTE_PGM_RSRC3_GFX90A:ACCUM_OFFSET: 31
; COMPUTE_PGM_RSRC3_GFX90A:TG_SPLIT: 0
	.text
	.p2alignl 6, 3212836864
	.fill 256, 4, 3212836864
	.type	__hip_cuid_fbe0da0a0a2f2a7,@object ; @__hip_cuid_fbe0da0a0a2f2a7
	.section	.bss,"aw",@nobits
	.globl	__hip_cuid_fbe0da0a0a2f2a7
__hip_cuid_fbe0da0a0a2f2a7:
	.byte	0                               ; 0x0
	.size	__hip_cuid_fbe0da0a0a2f2a7, 1

	.ident	"AMD clang version 19.0.0git (https://github.com/RadeonOpenCompute/llvm-project roc-6.4.0 25133 c7fe45cf4b819c5991fe208aaa96edf142730f1d)"
	.section	".note.GNU-stack","",@progbits
	.addrsig
	.addrsig_sym __hip_cuid_fbe0da0a0a2f2a7
	.amdgpu_metadata
---
amdhsa.kernels:
  - .agpr_count:     0
    .args:
      - .actual_access:  read_only
        .address_space:  global
        .offset:         0
        .size:           8
        .value_kind:     global_buffer
      - .offset:         8
        .size:           8
        .value_kind:     by_value
      - .actual_access:  read_only
        .address_space:  global
        .offset:         16
        .size:           8
        .value_kind:     global_buffer
      - .actual_access:  read_only
        .address_space:  global
        .offset:         24
        .size:           8
        .value_kind:     global_buffer
      - .offset:         32
        .size:           8
        .value_kind:     by_value
      - .actual_access:  read_only
        .address_space:  global
        .offset:         40
        .size:           8
        .value_kind:     global_buffer
      - .actual_access:  read_only
        .address_space:  global
        .offset:         48
        .size:           8
        .value_kind:     global_buffer
      - .offset:         56
        .size:           4
        .value_kind:     by_value
      - .actual_access:  read_only
        .address_space:  global
        .offset:         64
        .size:           8
        .value_kind:     global_buffer
      - .actual_access:  read_only
        .address_space:  global
        .offset:         72
        .size:           8
        .value_kind:     global_buffer
      - .address_space:  global
        .offset:         80
        .size:           8
        .value_kind:     global_buffer
    .group_segment_fixed_size: 0
    .kernarg_segment_align: 8
    .kernarg_segment_size: 88
    .language:       OpenCL C
    .language_version:
      - 2
      - 0
    .max_flat_workgroup_size: 99
    .name:           fft_rtc_fwd_len594_factors_11_3_6_3_wgs_99_tpt_99_sp_ip_CI_unitstride_sbrr_C2R_dirReg
    .private_segment_fixed_size: 0
    .sgpr_count:     46
    .sgpr_spill_count: 0
    .symbol:         fft_rtc_fwd_len594_factors_11_3_6_3_wgs_99_tpt_99_sp_ip_CI_unitstride_sbrr_C2R_dirReg.kd
    .uniform_work_group_size: 1
    .uses_dynamic_stack: false
    .vgpr_count:     125
    .vgpr_spill_count: 0
    .wavefront_size: 64
amdhsa.target:   amdgcn-amd-amdhsa--gfx950
amdhsa.version:
  - 1
  - 2
...

	.end_amdgpu_metadata
